;; amdgpu-corpus repo=ROCm/rocFFT kind=compiled arch=gfx1100 opt=O3
	.text
	.amdgcn_target "amdgcn-amd-amdhsa--gfx1100"
	.amdhsa_code_object_version 6
	.protected	fft_rtc_back_len64_factors_4_4_4_wgs_128_tpt_16_dp_op_CI_CI_sbrc_erc_z_xy_aligned ; -- Begin function fft_rtc_back_len64_factors_4_4_4_wgs_128_tpt_16_dp_op_CI_CI_sbrc_erc_z_xy_aligned
	.globl	fft_rtc_back_len64_factors_4_4_4_wgs_128_tpt_16_dp_op_CI_CI_sbrc_erc_z_xy_aligned
	.p2align	8
	.type	fft_rtc_back_len64_factors_4_4_4_wgs_128_tpt_16_dp_op_CI_CI_sbrc_erc_z_xy_aligned,@function
fft_rtc_back_len64_factors_4_4_4_wgs_128_tpt_16_dp_op_CI_CI_sbrc_erc_z_xy_aligned: ; @fft_rtc_back_len64_factors_4_4_4_wgs_128_tpt_16_dp_op_CI_CI_sbrc_erc_z_xy_aligned
; %bb.0:
	s_load_b256 s[4:11], s[0:1], 0x0
	v_and_b32_e32 v19, 63, v0
	v_lshrrev_b32_e32 v20, 6, v0
	v_and_b32_e32 v33, 15, v0
	v_and_b32_e32 v36, 3, v0
	s_delay_alu instid0(VALU_DEP_2)
	v_lshlrev_b32_e32 v21, 4, v33
	s_waitcnt lgkmcnt(0)
	s_load_b128 s[16:19], s[8:9], 0x8
	s_load_b128 s[20:23], s[10:11], 0x0
	s_waitcnt lgkmcnt(0)
	s_load_b32 s23, s[10:11], 0x10
	s_add_i32 s2, s16, -1
	v_mad_u64_u32 v[3:4], null, s20, v19, 0
	s_lshr_b32 s8, s2, 3
	s_delay_alu instid0(SALU_CYCLE_1) | instskip(NEXT) | instid1(SALU_CYCLE_1)
	s_add_i32 s9, s8, 1
	s_mul_i32 s12, s9, s18
	v_cvt_f32_u32_e32 v2, s9
	v_cvt_f32_u32_e32 v1, s12
	s_sub_i32 s3, 0, s12
	s_delay_alu instid0(VALU_DEP_2) | instskip(NEXT) | instid1(VALU_DEP_1)
	v_rcp_iflag_f32_e32 v2, v2
	v_rcp_iflag_f32_e32 v1, v1
	s_waitcnt_depctr 0xfff
	v_mul_f32_e32 v1, 0x4f7ffffe, v1
	s_delay_alu instid0(VALU_DEP_1) | instskip(NEXT) | instid1(VALU_DEP_1)
	v_cvt_u32_f32_e32 v1, v1
	v_readfirstlane_b32 s2, v1
	v_mul_f32_e32 v1, 0x4f7ffffe, v2
	s_delay_alu instid0(VALU_DEP_2) | instskip(NEXT) | instid1(VALU_DEP_1)
	s_mul_i32 s3, s3, s2
	v_cvt_u32_f32_e32 v1, v1
	s_mul_hi_u32 s3, s2, s3
	s_delay_alu instid0(SALU_CYCLE_1) | instskip(NEXT) | instid1(SALU_CYCLE_1)
	s_add_i32 s2, s2, s3
	s_mul_hi_u32 s2, s15, s2
	s_delay_alu instid0(VALU_DEP_1)
	v_readfirstlane_b32 s16, v1
	s_mul_i32 s3, s2, s12
	s_add_i32 s13, s2, 1
	s_sub_i32 s3, s15, s3
	v_mov_b32_e32 v1, v4
	s_sub_i32 s14, s3, s12
	s_cmp_ge_u32 s3, s12
	s_cselect_b32 s13, s13, s2
	s_cselect_b32 s2, s14, s3
	s_add_i32 s14, s13, 1
	s_cmp_ge_u32 s2, s12
	s_load_b64 s[2:3], s[0:1], 0x20
	s_cselect_b32 s14, s14, s13
	s_not_b32 s8, s8
	s_mul_i32 s12, s14, s12
	s_mul_i32 s8, s8, s16
	s_sub_i32 s12, s15, s12
	s_mul_hi_u32 s8, s16, s8
	v_mad_u64_u32 v[4:5], null, s21, v19, v[1:2]
	s_add_i32 s16, s16, s8
	v_mul_lo_u32 v1, v20, s22
	s_mul_hi_u32 s8, s12, s16
	s_mul_hi_u32 s24, s15, s16
	s_mul_i32 s13, s8, s9
	s_mul_i32 s24, s24, s9
	s_sub_i32 s12, s12, s13
	s_add_i32 s13, s8, 1
	s_sub_i32 s17, s12, s9
	s_cmp_ge_u32 s12, s9
	v_mov_b32_e32 v2, 0
	s_cselect_b32 s12, s17, s12
	s_waitcnt lgkmcnt(0)
	s_load_b128 s[16:19], s[2:3], 0x0
	s_cselect_b32 s8, s13, s8
	v_lshlrev_b64 v[3:4], 4, v[3:4]
	s_add_i32 s13, s8, 1
	s_cmp_ge_u32 s12, s9
	v_lshlrev_b64 v[5:6], 4, v[1:2]
	s_waitcnt lgkmcnt(0)
	s_cselect_b32 s19, s13, s8
	s_sub_i32 s8, s15, s24
	v_lshlrev_b32_e32 v19, 4, v19
	s_sub_i32 s12, s8, s9
	s_cmp_ge_u32 s8, s9
	v_mul_u32_u24_e32 v20, 0x410, v20
	s_cselect_b32 s12, s12, s8
	s_delay_alu instid0(SALU_CYCLE_1)
	s_sub_i32 s13, s12, s9
	s_cmp_ge_u32 s12, s9
	s_load_b64 s[8:9], s[2:3], 0x10
	s_waitcnt lgkmcnt(0)
	s_cselect_b32 s9, s13, s12
	s_mul_i32 s12, s19, s23
	s_lshl_b32 s9, s9, 3
	s_lshl_b64 s[24:25], s[6:7], 3
	s_mul_i32 s6, s9, s22
	s_mul_i32 s7, s17, s9
	s_mul_hi_u32 s13, s16, s9
	s_add_i32 s6, s6, s12
	s_add_i32 s13, s13, s7
	s_add_u32 s10, s10, s24
	s_addc_u32 s11, s11, s25
	v_add3_u32 v19, 0, v19, v20
	s_load_b64 s[26:27], s[10:11], 0x0
	s_waitcnt lgkmcnt(0)
	s_mul_i32 s7, s27, s14
	s_mul_hi_u32 s10, s26, s14
	s_mul_i32 s26, s26, s14
	s_add_i32 s27, s10, s7
	s_add_u32 s2, s2, s24
	s_addc_u32 s3, s3, s25
	s_load_b64 s[10:11], s[2:3], 0x0
	s_load_b128 s[0:3], s[0:1], 0x58
	s_lshl_b64 s[20:21], s[26:27], 4
	s_mov_b32 s7, 0
	s_waitcnt lgkmcnt(0)
	s_mul_i32 s11, s11, s14
	s_mul_hi_u32 s12, s10, s14
	s_mul_i32 s10, s10, s14
	s_add_i32 s11, s12, s11
	s_add_u32 s12, s0, s20
	s_addc_u32 s15, s1, s21
	s_lshl_b64 s[0:1], s[6:7], 4
	s_delay_alu instid0(SALU_CYCLE_1)
	s_add_u32 s0, s12, s0
	s_addc_u32 s1, s15, s1
	s_lshl_b32 s6, s22, 1
	v_add_co_u32 v13, vcc_lo, s0, v3
	v_add_nc_u32_e32 v1, s6, v1
	v_add_co_ci_u32_e32 v14, vcc_lo, s1, v4, vcc_lo
	s_delay_alu instid0(VALU_DEP_3) | instskip(NEXT) | instid1(VALU_DEP_3)
	v_add_co_u32 v5, vcc_lo, v13, v5
	v_lshlrev_b64 v[3:4], 4, v[1:2]
	v_add_nc_u32_e32 v1, s6, v1
	s_delay_alu instid0(VALU_DEP_4) | instskip(SKIP_2) | instid1(VALU_DEP_2)
	v_add_co_ci_u32_e32 v6, vcc_lo, v14, v6, vcc_lo
	s_mul_i32 s12, s16, s9
	s_mov_b32 s1, s7
	v_lshlrev_b64 v[7:8], 4, v[1:2]
	v_add_nc_u32_e32 v1, s6, v1
	v_add_co_u32 v9, vcc_lo, v13, v3
	v_add_co_ci_u32_e32 v10, vcc_lo, v14, v4, vcc_lo
	s_delay_alu instid0(VALU_DEP_3) | instskip(SKIP_3) | instid1(VALU_DEP_4)
	v_lshlrev_b64 v[3:4], 4, v[1:2]
	v_add_co_u32 v11, vcc_lo, v13, v7
	v_add_co_ci_u32_e32 v12, vcc_lo, v14, v8, vcc_lo
	v_lshrrev_b32_e32 v1, 4, v0
	v_add_co_u32 v15, vcc_lo, v13, v3
	v_add_co_ci_u32_e32 v16, vcc_lo, v14, v4, vcc_lo
	s_clause 0x3
	global_load_b128 v[3:6], v[5:6], off
	global_load_b128 v[7:10], v[9:10], off
	;; [unrolled: 1-line block ×4, first 2 shown]
	v_mul_u32_u24_e32 v1, 0x41, v1
	s_mul_i32 s0, s19, s18
	s_waitcnt vmcnt(3)
	ds_store_b128 v19, v[3:6]
	s_waitcnt vmcnt(2)
	ds_store_b128 v19, v[7:10] offset:2080
	s_waitcnt vmcnt(1)
	ds_store_b128 v19, v[11:14] offset:4160
	;; [unrolled: 2-line block ×3, first 2 shown]
	v_lshlrev_b32_e32 v1, 4, v1
	s_waitcnt lgkmcnt(0)
	s_barrier
	buffer_gl0_inv
	v_add_nc_u32_e32 v34, 0, v1
	v_add3_u32 v35, 0, v21, v1
	s_delay_alu instid0(VALU_DEP_2)
	v_add_nc_u32_e32 v1, v34, v21
	ds_load_b128 v[3:6], v35 offset:512
	ds_load_b128 v[7:10], v1
	ds_load_b128 v[11:14], v35 offset:256
	ds_load_b128 v[15:18], v35 offset:768
	s_waitcnt lgkmcnt(0)
	s_barrier
	buffer_gl0_inv
	v_add_f64 v[19:20], v[7:8], -v[3:4]
	v_add_f64 v[21:22], v[9:10], -v[5:6]
	;; [unrolled: 1-line block ×4, first 2 shown]
	s_delay_alu instid0(VALU_DEP_4) | instskip(NEXT) | instid1(VALU_DEP_4)
	v_fma_f64 v[15:16], v[7:8], 2.0, -v[19:20]
	v_fma_f64 v[17:18], v[9:10], 2.0, -v[21:22]
	s_delay_alu instid0(VALU_DEP_4) | instskip(NEXT) | instid1(VALU_DEP_4)
	v_fma_f64 v[7:8], v[11:12], 2.0, -v[5:6]
	v_fma_f64 v[9:10], v[13:14], 2.0, -v[3:4]
	v_add_f64 v[3:4], v[19:20], v[3:4]
	v_add_f64 v[5:6], v[21:22], -v[5:6]
	s_delay_alu instid0(VALU_DEP_4) | instskip(NEXT) | instid1(VALU_DEP_4)
	v_add_f64 v[7:8], v[15:16], -v[7:8]
	v_add_f64 v[9:10], v[17:18], -v[9:10]
	s_delay_alu instid0(VALU_DEP_4) | instskip(NEXT) | instid1(VALU_DEP_4)
	v_fma_f64 v[11:12], v[19:20], 2.0, -v[3:4]
	v_fma_f64 v[13:14], v[21:22], 2.0, -v[5:6]
	v_mul_u32_u24_e32 v19, 3, v36
	v_mad_u32_u24 v20, v33, 48, v35
	s_delay_alu instid0(VALU_DEP_2)
	v_lshlrev_b32_e32 v19, 4, v19
	v_fma_f64 v[15:16], v[15:16], 2.0, -v[7:8]
	v_fma_f64 v[17:18], v[17:18], 2.0, -v[9:10]
	ds_store_b128 v20, v[7:10] offset:32
	ds_store_b128 v20, v[3:6] offset:48
	ds_store_b128 v20, v[15:18]
	ds_store_b128 v20, v[11:14] offset:16
	s_waitcnt lgkmcnt(0)
	s_barrier
	buffer_gl0_inv
	s_clause 0x2
	global_load_b128 v[3:6], v19, s[4:5]
	global_load_b128 v[7:10], v19, s[4:5] offset:16
	global_load_b128 v[11:14], v19, s[4:5] offset:32
	ds_load_b128 v[15:18], v35 offset:256
	ds_load_b128 v[19:22], v35 offset:512
	;; [unrolled: 1-line block ×3, first 2 shown]
	s_waitcnt vmcnt(2) lgkmcnt(2)
	v_mul_f64 v[27:28], v[17:18], v[5:6]
	v_mul_f64 v[5:6], v[15:16], v[5:6]
	s_waitcnt vmcnt(1) lgkmcnt(1)
	v_mul_f64 v[29:30], v[21:22], v[9:10]
	v_mul_f64 v[9:10], v[19:20], v[9:10]
	;; [unrolled: 3-line block ×3, first 2 shown]
	v_fma_f64 v[15:16], v[15:16], v[3:4], v[27:28]
	v_fma_f64 v[17:18], v[17:18], v[3:4], -v[5:6]
	v_fma_f64 v[19:20], v[19:20], v[7:8], v[29:30]
	v_fma_f64 v[7:8], v[21:22], v[7:8], -v[9:10]
	;; [unrolled: 2-line block ×3, first 2 shown]
	ds_load_b128 v[3:6], v1
	s_waitcnt lgkmcnt(0)
	s_barrier
	buffer_gl0_inv
	v_add_f64 v[13:14], v[3:4], -v[19:20]
	v_add_f64 v[19:20], v[5:6], -v[7:8]
	;; [unrolled: 1-line block ×4, first 2 shown]
	s_delay_alu instid0(VALU_DEP_4) | instskip(NEXT) | instid1(VALU_DEP_4)
	v_fma_f64 v[23:24], v[3:4], 2.0, -v[13:14]
	v_fma_f64 v[25:26], v[5:6], 2.0, -v[19:20]
	s_delay_alu instid0(VALU_DEP_4) | instskip(NEXT) | instid1(VALU_DEP_4)
	v_fma_f64 v[5:6], v[15:16], 2.0, -v[21:22]
	v_fma_f64 v[9:10], v[17:18], 2.0, -v[7:8]
	v_add_f64 v[3:4], v[13:14], v[7:8]
	s_delay_alu instid0(VALU_DEP_3) | instskip(NEXT) | instid1(VALU_DEP_3)
	v_add_f64 v[7:8], v[23:24], -v[5:6]
	v_add_f64 v[9:10], v[25:26], -v[9:10]
	;; [unrolled: 1-line block ×3, first 2 shown]
	s_delay_alu instid0(VALU_DEP_4) | instskip(NEXT) | instid1(VALU_DEP_4)
	v_fma_f64 v[11:12], v[13:14], 2.0, -v[3:4]
	v_fma_f64 v[15:16], v[23:24], 2.0, -v[7:8]
	s_delay_alu instid0(VALU_DEP_4) | instskip(NEXT) | instid1(VALU_DEP_4)
	v_fma_f64 v[17:18], v[25:26], 2.0, -v[9:10]
	v_fma_f64 v[13:14], v[19:20], 2.0, -v[5:6]
	v_lshlrev_b32_e32 v19, 2, v0
	v_mul_u32_u24_e32 v20, 3, v33
	s_delay_alu instid0(VALU_DEP_2) | instskip(NEXT) | instid1(VALU_DEP_2)
	v_and_or_b32 v19, v19, 48, v36
	v_lshlrev_b32_e32 v20, 4, v20
	s_delay_alu instid0(VALU_DEP_2)
	v_lshl_add_u32 v19, v19, 4, v34
	ds_store_b128 v19, v[7:10] offset:128
	ds_store_b128 v19, v[3:6] offset:192
	ds_store_b128 v19, v[15:18]
	ds_store_b128 v19, v[11:14] offset:64
	s_waitcnt lgkmcnt(0)
	s_barrier
	buffer_gl0_inv
	s_clause 0x2
	global_load_b128 v[3:6], v20, s[4:5] offset:192
	global_load_b128 v[7:10], v20, s[4:5] offset:208
	;; [unrolled: 1-line block ×3, first 2 shown]
	ds_load_b128 v[15:18], v35 offset:256
	ds_load_b128 v[19:22], v35 offset:512
	;; [unrolled: 1-line block ×3, first 2 shown]
	s_lshl_b64 s[4:5], s[12:13], 4
	s_delay_alu instid0(SALU_CYCLE_1) | instskip(SKIP_2) | instid1(SALU_CYCLE_1)
	s_add_u32 s2, s2, s4
	s_addc_u32 s3, s3, s5
	s_lshl_b64 s[0:1], s[0:1], 4
	s_add_u32 s2, s2, s0
	s_addc_u32 s3, s3, s1
	s_lshl_b64 s[0:1], s[10:11], 4
	s_delay_alu instid0(SALU_CYCLE_1)
	s_add_u32 s0, s2, s0
	s_addc_u32 s1, s3, s1
	s_lshl_b32 s2, s8, 4
	s_waitcnt vmcnt(2) lgkmcnt(2)
	v_mul_f64 v[27:28], v[17:18], v[5:6]
	v_mul_f64 v[5:6], v[15:16], v[5:6]
	s_waitcnt vmcnt(1) lgkmcnt(1)
	v_mul_f64 v[29:30], v[21:22], v[9:10]
	v_mul_f64 v[9:10], v[19:20], v[9:10]
	;; [unrolled: 3-line block ×3, first 2 shown]
	v_fma_f64 v[15:16], v[15:16], v[3:4], v[27:28]
	v_fma_f64 v[17:18], v[17:18], v[3:4], -v[5:6]
	v_fma_f64 v[19:20], v[19:20], v[7:8], v[29:30]
	v_fma_f64 v[7:8], v[21:22], v[7:8], -v[9:10]
	;; [unrolled: 2-line block ×3, first 2 shown]
	ds_load_b128 v[3:6], v1
	v_lshrrev_b32_e32 v29, 3, v0
	s_waitcnt lgkmcnt(0)
	s_barrier
	buffer_gl0_inv
	v_add_f64 v[19:20], v[3:4], -v[19:20]
	v_add_f64 v[22:23], v[5:6], -v[7:8]
	;; [unrolled: 1-line block ×4, first 2 shown]
	s_delay_alu instid0(VALU_DEP_4) | instskip(NEXT) | instid1(VALU_DEP_4)
	v_fma_f64 v[24:25], v[3:4], 2.0, -v[19:20]
	v_fma_f64 v[4:5], v[5:6], 2.0, -v[22:23]
	s_delay_alu instid0(VALU_DEP_4) | instskip(NEXT) | instid1(VALU_DEP_4)
	v_fma_f64 v[12:13], v[15:16], 2.0, -v[8:9]
	v_fma_f64 v[14:15], v[17:18], 2.0, -v[10:11]
	v_add_f64 v[6:7], v[19:20], v[10:11]
	v_add_f64 v[8:9], v[22:23], -v[8:9]
	s_delay_alu instid0(VALU_DEP_4) | instskip(NEXT) | instid1(VALU_DEP_4)
	v_add_f64 v[10:11], v[24:25], -v[12:13]
	v_add_f64 v[12:13], v[4:5], -v[14:15]
	v_and_b32_e32 v14, 7, v0
	s_delay_alu instid0(VALU_DEP_4) | instskip(NEXT) | instid1(VALU_DEP_2)
	v_fma_f64 v[16:17], v[22:23], 2.0, -v[8:9]
	v_mad_u64_u32 v[26:27], null, s16, v14, 0
	v_mad_u32_u24 v3, 0x410, v14, 0
	s_delay_alu instid0(VALU_DEP_2) | instskip(NEXT) | instid1(VALU_DEP_1)
	v_mov_b32_e32 v1, v27
	v_mad_u64_u32 v[27:28], null, s17, v14, v[1:2]
	v_fma_f64 v[14:15], v[19:20], 2.0, -v[6:7]
	v_mul_lo_u32 v1, v29, s8
	v_lshl_add_u32 v28, v29, 4, v3
	s_delay_alu instid0(VALU_DEP_2) | instskip(SKIP_4) | instid1(VALU_DEP_4)
	v_lshlrev_b64 v[22:23], 4, v[1:2]
	v_add_nc_u32_e32 v1, s2, v1
	v_fma_f64 v[18:19], v[24:25], 2.0, -v[10:11]
	v_fma_f64 v[20:21], v[4:5], 2.0, -v[12:13]
	v_lshlrev_b64 v[4:5], 4, v[26:27]
	v_lshlrev_b64 v[24:25], 4, v[1:2]
	v_add_nc_u32_e32 v1, s2, v1
	ds_store_b128 v35, v[10:13] offset:512
	ds_store_b128 v35, v[6:9] offset:768
	ds_store_b128 v35, v[18:21]
	ds_store_b128 v35, v[14:17] offset:256
	s_waitcnt lgkmcnt(0)
	s_barrier
	buffer_gl0_inv
	ds_load_b128 v[6:9], v28
	ds_load_b128 v[10:13], v28 offset:256
	ds_load_b128 v[14:17], v28 offset:512
	;; [unrolled: 1-line block ×3, first 2 shown]
	v_add_co_u32 v4, vcc_lo, s0, v4
	v_add_co_ci_u32_e32 v5, vcc_lo, s1, v5, vcc_lo
	v_lshlrev_b64 v[26:27], 4, v[1:2]
	v_add_nc_u32_e32 v1, s2, v1
	s_delay_alu instid0(VALU_DEP_4) | instskip(NEXT) | instid1(VALU_DEP_4)
	v_add_co_u32 v22, vcc_lo, v4, v22
	v_add_co_ci_u32_e32 v23, vcc_lo, v5, v23, vcc_lo
	v_add_co_u32 v24, vcc_lo, v4, v24
	s_delay_alu instid0(VALU_DEP_4) | instskip(SKIP_3) | instid1(VALU_DEP_4)
	v_lshlrev_b64 v[1:2], 4, v[1:2]
	v_add_co_ci_u32_e32 v25, vcc_lo, v5, v25, vcc_lo
	v_add_co_u32 v26, vcc_lo, v4, v26
	v_add_co_ci_u32_e32 v27, vcc_lo, v5, v27, vcc_lo
	v_add_co_u32 v1, vcc_lo, v4, v1
	v_add_co_ci_u32_e32 v2, vcc_lo, v5, v2, vcc_lo
	s_waitcnt lgkmcnt(3)
	global_store_b128 v[22:23], v[6:9], off
	s_waitcnt lgkmcnt(2)
	global_store_b128 v[24:25], v[10:13], off
	;; [unrolled: 2-line block ×4, first 2 shown]
	s_mov_b32 s0, exec_lo
	v_cmpx_gt_u32_e32 8, v0
	s_cbranch_execz .LBB0_2
; %bb.1:
	ds_load_b128 v[0:3], v3 offset:1024
	s_lshl_b32 s6, s8, 6
	s_delay_alu instid0(SALU_CYCLE_1) | instskip(NEXT) | instid1(SALU_CYCLE_1)
	s_lshl_b64 s[0:1], s[6:7], 4
	v_add_co_u32 v4, vcc_lo, v4, s0
	v_add_co_ci_u32_e32 v5, vcc_lo, s1, v5, vcc_lo
	s_waitcnt lgkmcnt(0)
	global_store_b128 v[4:5], v[0:3], off
.LBB0_2:
	s_nop 0
	s_sendmsg sendmsg(MSG_DEALLOC_VGPRS)
	s_endpgm
	.section	.rodata,"a",@progbits
	.p2align	6, 0x0
	.amdhsa_kernel fft_rtc_back_len64_factors_4_4_4_wgs_128_tpt_16_dp_op_CI_CI_sbrc_erc_z_xy_aligned
		.amdhsa_group_segment_fixed_size 0
		.amdhsa_private_segment_fixed_size 0
		.amdhsa_kernarg_size 104
		.amdhsa_user_sgpr_count 15
		.amdhsa_user_sgpr_dispatch_ptr 0
		.amdhsa_user_sgpr_queue_ptr 0
		.amdhsa_user_sgpr_kernarg_segment_ptr 1
		.amdhsa_user_sgpr_dispatch_id 0
		.amdhsa_user_sgpr_private_segment_size 0
		.amdhsa_wavefront_size32 1
		.amdhsa_uses_dynamic_stack 0
		.amdhsa_enable_private_segment 0
		.amdhsa_system_sgpr_workgroup_id_x 1
		.amdhsa_system_sgpr_workgroup_id_y 0
		.amdhsa_system_sgpr_workgroup_id_z 0
		.amdhsa_system_sgpr_workgroup_info 0
		.amdhsa_system_vgpr_workitem_id 0
		.amdhsa_next_free_vgpr 37
		.amdhsa_next_free_sgpr 28
		.amdhsa_reserve_vcc 1
		.amdhsa_float_round_mode_32 0
		.amdhsa_float_round_mode_16_64 0
		.amdhsa_float_denorm_mode_32 3
		.amdhsa_float_denorm_mode_16_64 3
		.amdhsa_dx10_clamp 1
		.amdhsa_ieee_mode 1
		.amdhsa_fp16_overflow 0
		.amdhsa_workgroup_processor_mode 1
		.amdhsa_memory_ordered 1
		.amdhsa_forward_progress 0
		.amdhsa_shared_vgpr_count 0
		.amdhsa_exception_fp_ieee_invalid_op 0
		.amdhsa_exception_fp_denorm_src 0
		.amdhsa_exception_fp_ieee_div_zero 0
		.amdhsa_exception_fp_ieee_overflow 0
		.amdhsa_exception_fp_ieee_underflow 0
		.amdhsa_exception_fp_ieee_inexact 0
		.amdhsa_exception_int_div_zero 0
	.end_amdhsa_kernel
	.text
.Lfunc_end0:
	.size	fft_rtc_back_len64_factors_4_4_4_wgs_128_tpt_16_dp_op_CI_CI_sbrc_erc_z_xy_aligned, .Lfunc_end0-fft_rtc_back_len64_factors_4_4_4_wgs_128_tpt_16_dp_op_CI_CI_sbrc_erc_z_xy_aligned
                                        ; -- End function
	.section	.AMDGPU.csdata,"",@progbits
; Kernel info:
; codeLenInByte = 2264
; NumSgprs: 30
; NumVgprs: 37
; ScratchSize: 0
; MemoryBound: 0
; FloatMode: 240
; IeeeMode: 1
; LDSByteSize: 0 bytes/workgroup (compile time only)
; SGPRBlocks: 3
; VGPRBlocks: 4
; NumSGPRsForWavesPerEU: 30
; NumVGPRsForWavesPerEU: 37
; Occupancy: 16
; WaveLimiterHint : 1
; COMPUTE_PGM_RSRC2:SCRATCH_EN: 0
; COMPUTE_PGM_RSRC2:USER_SGPR: 15
; COMPUTE_PGM_RSRC2:TRAP_HANDLER: 0
; COMPUTE_PGM_RSRC2:TGID_X_EN: 1
; COMPUTE_PGM_RSRC2:TGID_Y_EN: 0
; COMPUTE_PGM_RSRC2:TGID_Z_EN: 0
; COMPUTE_PGM_RSRC2:TIDIG_COMP_CNT: 0
	.text
	.p2alignl 7, 3214868480
	.fill 96, 4, 3214868480
	.type	__hip_cuid_d69df4a313cfa4c8,@object ; @__hip_cuid_d69df4a313cfa4c8
	.section	.bss,"aw",@nobits
	.globl	__hip_cuid_d69df4a313cfa4c8
__hip_cuid_d69df4a313cfa4c8:
	.byte	0                               ; 0x0
	.size	__hip_cuid_d69df4a313cfa4c8, 1

	.ident	"AMD clang version 19.0.0git (https://github.com/RadeonOpenCompute/llvm-project roc-6.4.0 25133 c7fe45cf4b819c5991fe208aaa96edf142730f1d)"
	.section	".note.GNU-stack","",@progbits
	.addrsig
	.addrsig_sym __hip_cuid_d69df4a313cfa4c8
	.amdgpu_metadata
---
amdhsa.kernels:
  - .args:
      - .actual_access:  read_only
        .address_space:  global
        .offset:         0
        .size:           8
        .value_kind:     global_buffer
      - .offset:         8
        .size:           8
        .value_kind:     by_value
      - .actual_access:  read_only
        .address_space:  global
        .offset:         16
        .size:           8
        .value_kind:     global_buffer
      - .actual_access:  read_only
        .address_space:  global
        .offset:         24
        .size:           8
        .value_kind:     global_buffer
      - .actual_access:  read_only
        .address_space:  global
        .offset:         32
        .size:           8
        .value_kind:     global_buffer
      - .offset:         40
        .size:           8
        .value_kind:     by_value
      - .actual_access:  read_only
        .address_space:  global
        .offset:         48
        .size:           8
        .value_kind:     global_buffer
      - .actual_access:  read_only
        .address_space:  global
        .offset:         56
        .size:           8
        .value_kind:     global_buffer
      - .offset:         64
        .size:           4
        .value_kind:     by_value
      - .actual_access:  read_only
        .address_space:  global
        .offset:         72
        .size:           8
        .value_kind:     global_buffer
      - .actual_access:  read_only
        .address_space:  global
        .offset:         80
        .size:           8
        .value_kind:     global_buffer
      - .actual_access:  read_only
        .address_space:  global
        .offset:         88
        .size:           8
        .value_kind:     global_buffer
      - .actual_access:  write_only
        .address_space:  global
        .offset:         96
        .size:           8
        .value_kind:     global_buffer
    .group_segment_fixed_size: 0
    .kernarg_segment_align: 8
    .kernarg_segment_size: 104
    .language:       OpenCL C
    .language_version:
      - 2
      - 0
    .max_flat_workgroup_size: 128
    .name:           fft_rtc_back_len64_factors_4_4_4_wgs_128_tpt_16_dp_op_CI_CI_sbrc_erc_z_xy_aligned
    .private_segment_fixed_size: 0
    .sgpr_count:     30
    .sgpr_spill_count: 0
    .symbol:         fft_rtc_back_len64_factors_4_4_4_wgs_128_tpt_16_dp_op_CI_CI_sbrc_erc_z_xy_aligned.kd
    .uniform_work_group_size: 1
    .uses_dynamic_stack: false
    .vgpr_count:     37
    .vgpr_spill_count: 0
    .wavefront_size: 32
    .workgroup_processor_mode: 1
amdhsa.target:   amdgcn-amd-amdhsa--gfx1100
amdhsa.version:
  - 1
  - 2
...

	.end_amdgpu_metadata
